;; amdgpu-corpus repo=ROCm/rocFFT kind=compiled arch=gfx906 opt=O3
	.text
	.amdgcn_target "amdgcn-amd-amdhsa--gfx906"
	.amdhsa_code_object_version 6
	.protected	fft_rtc_back_len96_factors_4_3_8_wgs_192_tpt_8_dim3_sp_ip_CI_sbcc_twdbase8_3step_dirReg ; -- Begin function fft_rtc_back_len96_factors_4_3_8_wgs_192_tpt_8_dim3_sp_ip_CI_sbcc_twdbase8_3step_dirReg
	.globl	fft_rtc_back_len96_factors_4_3_8_wgs_192_tpt_8_dim3_sp_ip_CI_sbcc_twdbase8_3step_dirReg
	.p2align	8
	.type	fft_rtc_back_len96_factors_4_3_8_wgs_192_tpt_8_dim3_sp_ip_CI_sbcc_twdbase8_3step_dirReg,@function
fft_rtc_back_len96_factors_4_3_8_wgs_192_tpt_8_dim3_sp_ip_CI_sbcc_twdbase8_3step_dirReg: ; @fft_rtc_back_len96_factors_4_3_8_wgs_192_tpt_8_dim3_sp_ip_CI_sbcc_twdbase8_3step_dirReg
; %bb.0:
	s_load_dwordx4 s[0:3], s[4:5], 0x10
	s_mov_b32 s7, 0
	s_mov_b64 s[20:21], 0
	s_waitcnt lgkmcnt(0)
	s_load_dwordx2 s[10:11], s[0:1], 0x8
	s_waitcnt lgkmcnt(0)
	s_add_u32 s8, s10, -1
	s_addc_u32 s9, s11, -1
	s_add_u32 s12, 0, 0xaaaa0000
	s_addc_u32 s13, 0, 42
	s_mul_hi_u32 s15, s12, 0xffffffe8
	s_add_i32 s13, s13, 0xaaaaa80
	s_sub_i32 s15, s15, s12
	s_mul_i32 s18, s13, 0xffffffe8
	s_mul_i32 s14, s12, 0xffffffe8
	s_add_i32 s15, s15, s18
	s_mul_hi_u32 s16, s13, s14
	s_mul_i32 s17, s13, s14
	s_mul_i32 s19, s12, s15
	s_mul_hi_u32 s14, s12, s14
	s_mul_hi_u32 s18, s12, s15
	s_add_u32 s14, s14, s19
	s_addc_u32 s18, 0, s18
	s_add_u32 s14, s14, s17
	s_mul_hi_u32 s19, s13, s15
	s_addc_u32 s14, s18, s16
	s_addc_u32 s16, s19, 0
	s_mul_i32 s15, s13, s15
	s_add_u32 s14, s14, s15
	v_mov_b32_e32 v1, s14
	s_addc_u32 s15, 0, s16
	v_add_co_u32_e32 v1, vcc, s12, v1
	s_cmp_lg_u64 vcc, 0
	s_addc_u32 s12, s13, s15
	v_readfirstlane_b32 s15, v1
	s_mul_i32 s14, s8, s12
	s_mul_hi_u32 s16, s8, s15
	s_mul_hi_u32 s13, s8, s12
	s_add_u32 s14, s16, s14
	s_addc_u32 s13, 0, s13
	s_mul_hi_u32 s17, s9, s15
	s_mul_i32 s15, s9, s15
	s_add_u32 s14, s14, s15
	s_mul_hi_u32 s16, s9, s12
	s_addc_u32 s13, s13, s17
	s_addc_u32 s14, s16, 0
	s_mul_i32 s12, s9, s12
	s_add_u32 s12, s13, s12
	s_addc_u32 s13, 0, s14
	s_add_u32 s14, s12, 1
	s_addc_u32 s15, s13, 0
	s_add_u32 s16, s12, 2
	s_mul_i32 s18, s13, 24
	s_mul_hi_u32 s19, s12, 24
	s_addc_u32 s17, s13, 0
	s_add_i32 s19, s19, s18
	s_mul_i32 s18, s12, 24
	v_mov_b32_e32 v1, s18
	v_sub_co_u32_e32 v1, vcc, s8, v1
	s_cmp_lg_u64 vcc, 0
	s_subb_u32 s8, s9, s19
	v_subrev_co_u32_e32 v2, vcc, 24, v1
	s_cmp_lg_u64 vcc, 0
	s_subb_u32 s9, s8, 0
	v_readfirstlane_b32 s18, v2
	s_cmp_gt_u32 s18, 23
	s_cselect_b32 s18, -1, 0
	s_cmp_eq_u32 s9, 0
	s_cselect_b32 s9, s18, -1
	s_cmp_lg_u32 s9, 0
	s_cselect_b32 s9, s16, s14
	s_cselect_b32 s14, s17, s15
	v_readfirstlane_b32 s15, v1
	s_cmp_gt_u32 s15, 23
	s_cselect_b32 s15, -1, 0
	s_cmp_eq_u32 s8, 0
	s_cselect_b32 s8, s15, -1
	s_cmp_lg_u32 s8, 0
	s_cselect_b32 s9, s9, s12
	s_cselect_b32 s8, s14, s13
	s_add_u32 s18, s9, 1
	s_addc_u32 s19, s8, 0
	v_mov_b32_e32 v1, s18
	v_mov_b32_e32 v2, s19
	v_cmp_lt_u64_e32 vcc, s[6:7], v[1:2]
	s_cbranch_vccnz .LBB0_2
; %bb.1:
	v_cvt_f32_u32_e32 v1, s18
	s_sub_i32 s8, 0, s18
	s_mov_b32 s21, s7
	v_rcp_iflag_f32_e32 v1, v1
	v_mul_f32_e32 v1, 0x4f7ffffe, v1
	v_cvt_u32_f32_e32 v1, v1
	v_readfirstlane_b32 s9, v1
	s_mul_i32 s8, s8, s9
	s_mul_hi_u32 s8, s9, s8
	s_add_i32 s9, s9, s8
	s_mul_hi_u32 s8, s6, s9
	s_mul_i32 s12, s8, s18
	s_sub_i32 s12, s6, s12
	s_add_i32 s9, s8, 1
	s_sub_i32 s13, s12, s18
	s_cmp_ge_u32 s12, s18
	s_cselect_b32 s8, s9, s8
	s_cselect_b32 s12, s13, s12
	s_add_i32 s9, s8, 1
	s_cmp_ge_u32 s12, s18
	s_cselect_b32 s20, s9, s8
.LBB0_2:
	s_load_dwordx2 s[8:9], s[0:1], 0x10
	s_load_dwordx2 s[12:13], s[2:3], 0x8
	s_mov_b64 s[0:1], s[20:21]
	s_waitcnt lgkmcnt(0)
	v_mov_b32_e32 v1, s8
	v_mov_b32_e32 v2, s9
	v_cmp_lt_u64_e32 vcc, s[20:21], v[1:2]
	s_cbranch_vccnz .LBB0_4
; %bb.3:
	v_cvt_f32_u32_e32 v1, s8
	s_sub_i32 s0, 0, s8
	v_rcp_iflag_f32_e32 v1, v1
	v_mul_f32_e32 v1, 0x4f7ffffe, v1
	v_cvt_u32_f32_e32 v1, v1
	v_readfirstlane_b32 s1, v1
	s_mul_i32 s0, s0, s1
	s_mul_hi_u32 s0, s1, s0
	s_add_i32 s1, s1, s0
	s_mul_hi_u32 s0, s20, s1
	s_mul_i32 s0, s0, s8
	s_sub_i32 s0, s20, s0
	s_sub_i32 s1, s0, s8
	s_cmp_ge_u32 s0, s8
	s_cselect_b32 s0, s1, s0
	s_sub_i32 s1, s0, s8
	s_cmp_ge_u32 s0, s8
	s_cselect_b32 s0, s1, s0
.LBB0_4:
	s_mul_i32 s1, s8, s19
	s_mul_hi_u32 s16, s8, s18
	s_add_i32 s1, s16, s1
	s_mul_i32 s9, s9, s18
	s_mul_i32 s16, s8, s18
	s_load_dwordx2 s[14:15], s[4:5], 0x50
	s_add_i32 s17, s1, s9
	s_load_dwordx2 s[8:9], s[2:3], 0x0
	s_load_dwordx2 s[22:23], s[2:3], 0x10
	v_mov_b32_e32 v1, s16
	v_mov_b32_e32 v2, s17
	v_cmp_lt_u64_e32 vcc, s[6:7], v[1:2]
	s_mov_b64 s[24:25], 0
	s_cbranch_vccnz .LBB0_6
; %bb.5:
	v_cvt_f32_u32_e32 v1, s16
	s_sub_i32 s1, 0, s16
	v_rcp_iflag_f32_e32 v1, v1
	v_mul_f32_e32 v1, 0x4f7ffffe, v1
	v_cvt_u32_f32_e32 v1, v1
	v_readfirstlane_b32 s7, v1
	s_mul_i32 s1, s1, s7
	s_mul_hi_u32 s1, s7, s1
	s_add_i32 s7, s7, s1
	s_mul_hi_u32 s1, s6, s7
	s_mul_i32 s17, s1, s16
	s_sub_i32 s17, s6, s17
	s_add_i32 s7, s1, 1
	s_sub_i32 s21, s17, s16
	s_cmp_ge_u32 s17, s16
	s_cselect_b32 s1, s7, s1
	s_cselect_b32 s17, s21, s17
	s_add_i32 s7, s1, 1
	s_cmp_ge_u32 s17, s16
	s_cselect_b32 s24, s7, s1
.LBB0_6:
	s_mul_i32 s1, s20, s19
	s_mul_hi_u32 s7, s20, s18
	s_add_i32 s7, s7, s1
	s_mul_i32 s1, s20, s18
	s_sub_u32 s1, s6, s1
	s_subb_u32 s6, 0, s7
	s_mul_i32 s6, s6, 24
	s_mul_hi_u32 s7, s1, 24
	s_add_i32 s18, s7, s6
	s_mul_i32 s1, s1, 24
	s_load_dwordx2 s[2:3], s[2:3], 0x18
	s_mul_i32 s6, s12, s18
	s_mul_hi_u32 s7, s12, s1
	s_add_i32 s6, s7, s6
	s_mul_i32 s7, s13, s1
	s_waitcnt lgkmcnt(0)
	s_mul_i32 s19, s23, s0
	s_mul_hi_u32 s20, s22, s0
	s_add_i32 s6, s6, s7
	s_mul_i32 s7, s12, s1
	s_add_i32 s20, s20, s19
	s_mul_i32 s0, s22, s0
	s_add_u32 s0, s0, s7
	v_mul_u32_u24_e32 v1, 0xaab, v0
	s_addc_u32 s7, s20, s6
	s_mul_i32 s3, s3, s24
	s_mul_hi_u32 s6, s2, s24
	v_lshrrev_b32_e32 v98, 16, v1
	s_add_i32 s3, s6, s3
	s_mul_i32 s2, s2, s24
	v_mul_lo_u16_e32 v1, 24, v98
	s_add_u32 s6, s2, s0
	v_sub_u16_e32 v100, v0, v1
	s_addc_u32 s7, s3, s7
	v_mov_b32_e32 v1, s18
	v_add_co_u32_e32 v12, vcc, s1, v100
	s_load_dwordx2 s[16:17], s[4:5], 0x0
	v_addc_co_u32_e32 v13, vcc, 0, v1, vcc
	s_add_u32 s0, s1, 24
	v_mov_b32_e32 v1, s10
	s_addc_u32 s1, s18, 0
	v_mov_b32_e32 v2, s11
	v_cmp_gt_u64_e32 vcc, s[0:1], v[1:2]
	v_cmp_le_u64_e64 s[0:1], s[0:1], v[1:2]
	s_and_b64 vcc, exec, vcc
	v_add_u32_e32 v29, 24, v98
	v_add_u32_e32 v30, 8, v98
	v_or_b32_e32 v99, 32, v98
	v_or_b32_e32 v31, 16, v98
	s_cbranch_vccnz .LBB0_8
; %bb.7:
	v_mad_u64_u32 v[1:2], s[2:3], s12, v100, 0
	v_mad_u64_u32 v[3:4], s[2:3], s8, v98, 0
	v_add_u32_e32 v28, 24, v98
	v_add_u32_e32 v11, 8, v98
	v_mad_u64_u32 v[5:6], s[2:3], s13, v100, v[2:3]
	v_mov_b32_e32 v2, v4
	v_mad_u64_u32 v[6:7], s[2:3], s9, v98, v[2:3]
	s_lshl_b64 s[2:3], s[6:7], 3
	s_add_u32 s18, s14, s2
	s_addc_u32 s2, s15, s3
	v_mov_b32_e32 v2, v5
	v_mov_b32_e32 v4, v6
	v_mov_b32_e32 v7, s2
	v_mad_u64_u32 v[5:6], s[2:3], s8, v28, 0
	v_lshlrev_b64 v[1:2], 3, v[1:2]
	v_or_b32_e32 v32, 16, v98
	v_add_co_u32_e32 v9, vcc, s18, v1
	v_addc_co_u32_e32 v10, vcc, v7, v2, vcc
	v_lshlrev_b64 v[1:2], 3, v[3:4]
	v_mov_b32_e32 v3, v6
	v_mad_u64_u32 v[3:4], s[2:3], s9, v28, v[3:4]
	v_or_b32_e32 v4, 48, v98
	v_mad_u64_u32 v[7:8], s[2:3], s8, v4, 0
	v_add_co_u32_e32 v33, vcc, v9, v1
	v_mov_b32_e32 v6, v3
	v_mov_b32_e32 v3, v8
	v_addc_co_u32_e32 v34, vcc, v10, v2, vcc
	v_lshlrev_b64 v[1:2], 3, v[5:6]
	v_mad_u64_u32 v[3:4], s[2:3], s9, v4, v[3:4]
	v_add_u32_e32 v6, 0x48, v98
	v_mad_u64_u32 v[4:5], s[2:3], s8, v6, 0
	v_mov_b32_e32 v8, v3
	v_add_co_u32_e32 v35, vcc, v9, v1
	v_mov_b32_e32 v3, v5
	v_mad_u64_u32 v[5:6], s[2:3], s9, v6, v[3:4]
	v_addc_co_u32_e32 v36, vcc, v10, v2, vcc
	v_lshlrev_b64 v[1:2], 3, v[7:8]
	v_mad_u64_u32 v[6:7], s[2:3], s8, v11, 0
	v_add_co_u32_e32 v37, vcc, v9, v1
	v_mov_b32_e32 v3, v7
	v_addc_co_u32_e32 v38, vcc, v10, v2, vcc
	v_lshlrev_b64 v[1:2], 3, v[4:5]
	v_mad_u64_u32 v[3:4], s[2:3], s9, v11, v[3:4]
	v_mad_u64_u32 v[4:5], s[2:3], s8, v99, 0
	v_add_co_u32_e32 v39, vcc, v9, v1
	v_mov_b32_e32 v7, v3
	v_mov_b32_e32 v3, v5
	v_addc_co_u32_e32 v40, vcc, v10, v2, vcc
	v_lshlrev_b64 v[1:2], 3, v[6:7]
	v_mad_u64_u32 v[5:6], s[2:3], s9, v99, v[3:4]
	v_add_u32_e32 v8, 56, v98
	v_mad_u64_u32 v[6:7], s[2:3], s8, v8, 0
	v_add_co_u32_e32 v41, vcc, v9, v1
	v_mov_b32_e32 v3, v7
	v_addc_co_u32_e32 v42, vcc, v10, v2, vcc
	v_lshlrev_b64 v[1:2], 3, v[4:5]
	v_mad_u64_u32 v[3:4], s[2:3], s9, v8, v[3:4]
	v_or_b32_e32 v8, 0x50, v98
	v_mad_u64_u32 v[4:5], s[2:3], s8, v8, 0
	v_add_co_u32_e32 v43, vcc, v9, v1
	v_mov_b32_e32 v7, v3
	v_mov_b32_e32 v3, v5
	v_addc_co_u32_e32 v44, vcc, v10, v2, vcc
	v_lshlrev_b64 v[1:2], 3, v[6:7]
	v_mad_u64_u32 v[5:6], s[2:3], s9, v8, v[3:4]
	v_mad_u64_u32 v[6:7], s[2:3], s8, v32, 0
	v_add_co_u32_e32 v45, vcc, v9, v1
	v_mov_b32_e32 v3, v7
	v_addc_co_u32_e32 v46, vcc, v10, v2, vcc
	v_lshlrev_b64 v[1:2], 3, v[4:5]
	v_mad_u64_u32 v[3:4], s[2:3], s9, v32, v[3:4]
	v_add_u32_e32 v8, 40, v98
	v_mad_u64_u32 v[4:5], s[2:3], s8, v8, 0
	v_add_co_u32_e32 v47, vcc, v9, v1
	v_mov_b32_e32 v7, v3
	v_mov_b32_e32 v3, v5
	v_addc_co_u32_e32 v48, vcc, v10, v2, vcc
	v_lshlrev_b64 v[1:2], 3, v[6:7]
	v_mad_u64_u32 v[5:6], s[2:3], s9, v8, v[3:4]
	v_or_b32_e32 v8, 64, v98
	v_mad_u64_u32 v[6:7], s[2:3], s8, v8, 0
	v_add_co_u32_e32 v49, vcc, v9, v1
	v_mov_b32_e32 v3, v7
	v_addc_co_u32_e32 v50, vcc, v10, v2, vcc
	v_lshlrev_b64 v[1:2], 3, v[4:5]
	v_mad_u64_u32 v[3:4], s[2:3], s9, v8, v[3:4]
	v_add_u32_e32 v8, 0x58, v98
	v_mad_u64_u32 v[4:5], s[2:3], s8, v8, 0
	v_add_co_u32_e32 v51, vcc, v9, v1
	v_mov_b32_e32 v7, v3
	v_mov_b32_e32 v3, v5
	v_addc_co_u32_e32 v52, vcc, v10, v2, vcc
	v_lshlrev_b64 v[1:2], 3, v[6:7]
	v_mad_u64_u32 v[5:6], s[2:3], s9, v8, v[3:4]
	v_add_co_u32_e32 v53, vcc, v9, v1
	v_addc_co_u32_e32 v54, vcc, v10, v2, vcc
	v_lshlrev_b64 v[1:2], 3, v[4:5]
	v_add_co_u32_e32 v55, vcc, v9, v1
	v_addc_co_u32_e32 v56, vcc, v10, v2, vcc
	global_load_dwordx2 v[5:6], v[33:34], off
	global_load_dwordx2 v[3:4], v[35:36], off
	;; [unrolled: 1-line block ×12, first 2 shown]
	s_cbranch_execz .LBB0_9
	s_branch .LBB0_14
.LBB0_8:
                                        ; implicit-def: $vgpr9
                                        ; implicit-def: $vgpr22
                                        ; implicit-def: $vgpr26
                                        ; implicit-def: $vgpr20
                                        ; implicit-def: $vgpr24
                                        ; implicit-def: $vgpr18
                                        ; implicit-def: $vgpr14
                                        ; implicit-def: $vgpr16
                                        ; implicit-def: $vgpr1
                                        ; implicit-def: $vgpr11
                                        ; implicit-def: $vgpr32
                                        ; implicit-def: $vgpr28
                                        ; implicit-def: $vgpr7
                                        ; implicit-def: $vgpr3
                                        ; implicit-def: $vgpr5
.LBB0_9:
	v_cmp_le_u64_e32 vcc, s[10:11], v[12:13]
                                        ; implicit-def: $vgpr11
                                        ; implicit-def: $vgpr32
                                        ; implicit-def: $vgpr28
	s_and_saveexec_b64 s[2:3], vcc
	s_xor_b64 s[2:3], exec, s[2:3]
; %bb.10:
	v_add_u32_e32 v11, 8, v98
	v_or_b32_e32 v32, 16, v98
	v_add_u32_e32 v28, 24, v98
                                        ; implicit-def: $vgpr29
                                        ; implicit-def: $vgpr30
                                        ; implicit-def: $vgpr31
; %bb.11:
	s_or_saveexec_b64 s[2:3], s[2:3]
                                        ; implicit-def: $vgpr9
                                        ; implicit-def: $vgpr22
                                        ; implicit-def: $vgpr26
                                        ; implicit-def: $vgpr20
                                        ; implicit-def: $vgpr24
                                        ; implicit-def: $vgpr18
                                        ; implicit-def: $vgpr14
                                        ; implicit-def: $vgpr16
                                        ; implicit-def: $vgpr1
                                        ; implicit-def: $vgpr7
                                        ; implicit-def: $vgpr3
                                        ; implicit-def: $vgpr5
	s_xor_b64 exec, exec, s[2:3]
	s_cbranch_execz .LBB0_13
; %bb.12:
	s_waitcnt vmcnt(8)
	v_mad_u64_u32 v[1:2], s[18:19], s12, v100, 0
	v_mad_u64_u32 v[3:4], s[18:19], s8, v98, 0
	;; [unrolled: 1-line block ×3, first 2 shown]
	v_mov_b32_e32 v2, v4
	v_mad_u64_u32 v[6:7], s[18:19], s9, v98, v[2:3]
	s_lshl_b64 s[18:19], s[6:7], 3
	s_add_u32 s20, s14, s18
	s_addc_u32 s18, s15, s19
	v_mov_b32_e32 v2, v5
	v_mov_b32_e32 v4, v6
	v_mov_b32_e32 v7, s18
	v_mad_u64_u32 v[5:6], s[18:19], s8, v29, 0
	v_lshlrev_b64 v[1:2], 3, v[1:2]
	s_waitcnt vmcnt(5)
	v_mad_u64_u32 v[18:19], s[18:19], s8, v30, 0
	v_add_co_u32_e32 v38, vcc, s20, v1
	v_addc_co_u32_e32 v39, vcc, v7, v2, vcc
	v_lshlrev_b64 v[1:2], 3, v[3:4]
	v_mov_b32_e32 v3, v6
	v_mad_u64_u32 v[3:4], s[18:19], s9, v29, v[3:4]
	v_or_b32_e32 v4, 48, v98
	v_mad_u64_u32 v[7:8], s[18:19], s8, v4, 0
	s_waitcnt vmcnt(4)
	v_add_co_u32_e32 v9, vcc, v38, v1
	v_mov_b32_e32 v6, v3
	v_mov_b32_e32 v3, v8
	v_addc_co_u32_e32 v10, vcc, v39, v2, vcc
	v_lshlrev_b64 v[1:2], 3, v[5:6]
	v_mad_u64_u32 v[3:4], s[18:19], s9, v4, v[3:4]
	v_add_u32_e32 v6, 0x48, v98
	v_mad_u64_u32 v[4:5], s[18:19], s8, v6, 0
	v_mov_b32_e32 v8, v3
	v_add_co_u32_e32 v14, vcc, v38, v1
	v_mov_b32_e32 v3, v5
	v_mad_u64_u32 v[5:6], s[18:19], s9, v6, v[3:4]
	v_addc_co_u32_e32 v15, vcc, v39, v2, vcc
	v_lshlrev_b64 v[1:2], 3, v[7:8]
	s_waitcnt vmcnt(1)
	v_mad_u64_u32 v[26:27], s[18:19], s8, v31, 0
	v_add_co_u32_e32 v16, vcc, v38, v1
	v_addc_co_u32_e32 v17, vcc, v39, v2, vcc
	v_lshlrev_b64 v[1:2], 3, v[4:5]
	v_add_co_u32_e32 v20, vcc, v38, v1
	v_mov_b32_e32 v1, v19
	s_waitcnt vmcnt(0)
	v_mad_u64_u32 v[22:23], s[18:19], s9, v30, v[1:2]
	v_mad_u64_u32 v[23:24], s[18:19], s8, v99, 0
	v_addc_co_u32_e32 v21, vcc, v39, v2, vcc
	v_mov_b32_e32 v11, v24
	global_load_dwordx2 v[5:6], v[9:10], off
	global_load_dwordx2 v[3:4], v[14:15], off
	;; [unrolled: 1-line block ×4, first 2 shown]
	v_mad_u64_u32 v[14:15], s[18:19], s9, v99, v[11:12]
	v_add_u32_e32 v17, 56, v98
	v_mad_u64_u32 v[15:16], s[18:19], s8, v17, 0
	v_mov_b32_e32 v19, v22
	v_lshlrev_b64 v[9:10], 3, v[18:19]
	v_mov_b32_e32 v11, v16
	v_mov_b32_e32 v24, v14
	v_mad_u64_u32 v[16:17], s[18:19], s9, v17, v[11:12]
	v_or_b32_e32 v14, 0x50, v98
	v_mad_u64_u32 v[17:18], s[18:19], s8, v14, 0
	v_add_co_u32_e32 v20, vcc, v38, v9
	v_addc_co_u32_e32 v21, vcc, v39, v10, vcc
	v_lshlrev_b64 v[9:10], 3, v[23:24]
	v_mov_b32_e32 v11, v18
	v_add_co_u32_e32 v22, vcc, v38, v9
	v_addc_co_u32_e32 v23, vcc, v39, v10, vcc
	v_lshlrev_b64 v[9:10], 3, v[15:16]
	v_mad_u64_u32 v[14:15], s[18:19], s9, v14, v[11:12]
	v_add_co_u32_e32 v24, vcc, v38, v9
	v_mov_b32_e32 v18, v14
	v_addc_co_u32_e32 v25, vcc, v39, v10, vcc
	v_lshlrev_b64 v[9:10], 3, v[17:18]
	v_add_co_u32_e32 v32, vcc, v38, v9
	v_mov_b32_e32 v9, v27
	v_mad_u64_u32 v[27:28], s[18:19], s9, v31, v[9:10]
	v_add_u32_e32 v28, 40, v98
	v_mad_u64_u32 v[34:35], s[18:19], s8, v28, 0
	v_addc_co_u32_e32 v33, vcc, v39, v10, vcc
	v_mov_b32_e32 v11, v35
	global_load_dwordx2 v[16:17], v[20:21], off
	global_load_dwordx2 v[14:15], v[22:23], off
	;; [unrolled: 1-line block ×4, first 2 shown]
	v_mad_u64_u32 v[22:23], s[18:19], s9, v28, v[11:12]
	v_or_b32_e32 v25, 64, v98
	v_mad_u64_u32 v[23:24], s[18:19], s8, v25, 0
	v_lshlrev_b64 v[20:21], 3, v[26:27]
	v_mov_b32_e32 v35, v22
	v_mov_b32_e32 v11, v24
	v_mad_u64_u32 v[24:25], s[18:19], s9, v25, v[11:12]
	v_add_u32_e32 v22, 0x58, v98
	v_mad_u64_u32 v[25:26], s[18:19], s8, v22, 0
	v_add_co_u32_e32 v32, vcc, v38, v20
	v_addc_co_u32_e32 v33, vcc, v39, v21, vcc
	v_lshlrev_b64 v[20:21], 3, v[34:35]
	v_mov_b32_e32 v11, v26
	v_add_co_u32_e32 v34, vcc, v38, v20
	v_addc_co_u32_e32 v35, vcc, v39, v21, vcc
	v_lshlrev_b64 v[20:21], 3, v[23:24]
	v_mad_u64_u32 v[22:23], s[18:19], s9, v22, v[11:12]
	v_add_co_u32_e32 v36, vcc, v38, v20
	v_mov_b32_e32 v26, v22
	v_addc_co_u32_e32 v37, vcc, v39, v21, vcc
	v_lshlrev_b64 v[20:21], 3, v[25:26]
	v_mov_b32_e32 v11, v30
	v_add_co_u32_e32 v38, vcc, v38, v20
	v_addc_co_u32_e32 v39, vcc, v39, v21, vcc
	global_load_dwordx2 v[24:25], v[32:33], off
	global_load_dwordx2 v[20:21], v[34:35], off
	;; [unrolled: 1-line block ×4, first 2 shown]
	v_mov_b32_e32 v32, v31
	v_mov_b32_e32 v28, v29
.LBB0_13:
	s_or_b64 exec, exec, s[2:3]
.LBB0_14:
	s_waitcnt vmcnt(9)
	v_sub_f32_e32 v8, v6, v8
	s_waitcnt vmcnt(8)
	v_sub_f32_e32 v30, v4, v2
	v_sub_f32_e32 v7, v5, v7
	v_fma_f32 v6, v6, 2.0, -v8
	v_sub_f32_e32 v29, v3, v1
	v_fma_f32 v2, v4, 2.0, -v30
	v_fma_f32 v5, v5, 2.0, -v7
	;; [unrolled: 1-line block ×3, first 2 shown]
	v_sub_f32_e32 v2, v6, v2
	v_sub_f32_e32 v1, v5, v1
	v_fma_f32 v4, v6, 2.0, -v2
	v_sub_f32_e32 v6, v8, v29
	s_waitcnt vmcnt(5)
	v_sub_f32_e32 v18, v16, v18
	s_waitcnt vmcnt(4)
	v_sub_f32_e32 v29, v14, v9
	v_fma_f32 v3, v5, 2.0, -v1
	v_add_f32_e32 v5, v7, v30
	v_sub_f32_e32 v19, v17, v19
	v_fma_f32 v16, v16, 2.0, -v18
	v_sub_f32_e32 v30, v15, v10
	v_fma_f32 v9, v14, 2.0, -v29
	v_fma_f32 v17, v17, 2.0, -v19
	;; [unrolled: 1-line block ×3, first 2 shown]
	v_sub_f32_e32 v9, v16, v9
	v_sub_f32_e32 v10, v17, v10
	v_fma_f32 v14, v16, 2.0, -v9
	v_add_f32_e32 v16, v18, v30
	s_waitcnt vmcnt(1)
	v_sub_f32_e32 v27, v25, v27
	s_waitcnt vmcnt(0)
	v_sub_f32_e32 v30, v21, v23
	v_fma_f32 v15, v17, 2.0, -v10
	v_sub_f32_e32 v17, v19, v29
	v_sub_f32_e32 v26, v24, v26
	v_fma_f32 v25, v25, 2.0, -v27
	v_sub_f32_e32 v29, v20, v22
	v_fma_f32 v21, v21, 2.0, -v30
	v_fma_f32 v24, v24, 2.0, -v26
	;; [unrolled: 1-line block ×3, first 2 shown]
	v_sub_f32_e32 v21, v25, v21
	v_sub_f32_e32 v20, v24, v20
	v_fma_f32 v23, v25, 2.0, -v21
	v_sub_f32_e32 v25, v27, v29
	v_mul_u32_u24_e32 v29, 0x60, v98
	v_fma_f32 v22, v24, 2.0, -v20
	v_add_f32_e32 v24, v26, v30
	v_lshlrev_b32_e32 v29, 3, v29
	v_lshlrev_b32_e32 v30, 3, v100
	v_fma_f32 v7, v7, 2.0, -v5
	v_fma_f32 v8, v8, 2.0, -v6
	v_add3_u32 v29, 0, v29, v30
	ds_write2_b64 v29, v[3:4], v[7:8] offset1:24
	ds_write2_b64 v29, v[1:2], v[5:6] offset0:48 offset1:72
	v_mul_i32_i24_e32 v1, 0x60, v11
	v_lshlrev_b32_e32 v1, 3, v1
	v_add3_u32 v31, 0, v1, v30
	v_mul_i32_i24_e32 v1, 0x60, v32
	v_fma_f32 v18, v18, 2.0, -v16
	v_fma_f32 v19, v19, 2.0, -v17
	v_lshlrev_b32_e32 v1, 3, v1
	v_and_b32_e32 v33, 3, v98
	v_fma_f32 v26, v26, 2.0, -v24
	v_fma_f32 v27, v27, 2.0, -v25
	ds_write2_b64 v31, v[14:15], v[18:19] offset1:24
	ds_write2_b64 v31, v[9:10], v[16:17] offset0:48 offset1:72
	v_add3_u32 v9, 0, v1, v30
	v_lshlrev_b32_e32 v1, 4, v33
	ds_write2_b64 v9, v[22:23], v[26:27] offset1:24
	ds_write2_b64 v9, v[20:21], v[24:25] offset0:48 offset1:72
	s_waitcnt lgkmcnt(0)
	s_barrier
	global_load_dwordx4 v[1:4], v1, s[16:17]
	s_movk_i32 s2, 0xfdc0
	v_mad_i32_i24 v36, v98, s2, v29
	ds_read2st64_b64 v[5:8], v36 offset1:12
	ds_read2st64_b64 v[18:21], v36 offset0:21 offset1:24
	ds_read2st64_b64 v[22:25], v36 offset0:15 offset1:18
	;; [unrolled: 1-line block ×3, first 2 shown]
	v_mul_i32_i24_e32 v10, 0xc0, v28
	v_mad_i32_i24 v9, v32, s2, v9
	v_add3_u32 v29, 0, v10, v30
	v_mad_i32_i24 v37, v11, s2, v31
	ds_read_b64 v[16:17], v29
	ds_read_b64 v[14:15], v9
	;; [unrolled: 1-line block ×3, first 2 shown]
	ds_read_b64 v[26:27], v36 offset:16896
	s_movk_i32 s2, 0xc0
	s_waitcnt vmcnt(0) lgkmcnt(0)
	s_barrier
	v_mul_f32_e32 v34, v2, v23
	v_fmac_f32_e32 v34, v1, v22
	v_mul_f32_e32 v22, v2, v22
	v_fma_f32 v23, v1, v23, -v22
	v_mul_f32_e32 v22, v2, v24
	v_fma_f32 v42, v1, v25, -v22
	v_mul_f32_e32 v22, v4, v38
	v_mul_f32_e32 v35, v2, v25
	v_fma_f32 v25, v3, v39, -v22
	v_mul_f32_e32 v22, v4, v40
	v_fmac_f32_e32 v35, v1, v24
	v_mul_f32_e32 v24, v4, v39
	v_fma_f32 v39, v3, v41, -v22
	v_mul_f32_e32 v22, v4, v21
	v_fmac_f32_e32 v22, v3, v20
	v_mul_f32_e32 v20, v4, v20
	v_mul_f32_e32 v31, v2, v8
	v_fma_f32 v20, v3, v21, -v20
	v_mul_f32_e32 v21, v2, v19
	v_fmac_f32_e32 v31, v1, v7
	v_fmac_f32_e32 v24, v3, v38
	v_mul_f32_e32 v38, v4, v41
	v_fmac_f32_e32 v21, v1, v18
	v_mul_f32_e32 v18, v2, v18
	v_mul_f32_e32 v2, v2, v7
	v_fmac_f32_e32 v38, v3, v40
	v_fma_f32 v40, v1, v19, -v18
	v_fma_f32 v7, v1, v8, -v2
	v_mul_f32_e32 v41, v27, v4
	v_mul_f32_e32 v1, v26, v4
	v_add_f32_e32 v2, v31, v22
	v_fmac_f32_e32 v41, v26, v3
	v_fma_f32 v43, v27, v3, -v1
	v_fma_f32 v3, -0.5, v2, v5
	v_add_f32_e32 v4, v7, v20
	v_add_f32_e32 v1, v5, v31
	v_sub_f32_e32 v2, v7, v20
	v_mov_b32_e32 v5, v3
	v_fma_f32 v4, -0.5, v4, v6
	v_fmac_f32_e32 v5, 0xbf5db3d7, v2
	v_fmac_f32_e32 v3, 0x3f5db3d7, v2
	v_add_f32_e32 v2, v6, v7
	v_sub_f32_e32 v7, v31, v22
	v_mov_b32_e32 v6, v4
	v_add_f32_e32 v8, v34, v24
	v_fmac_f32_e32 v6, 0x3f5db3d7, v7
	v_fmac_f32_e32 v4, 0xbf5db3d7, v7
	v_add_f32_e32 v7, v9, v34
	v_fma_f32 v9, -0.5, v8, v9
	v_add_f32_e32 v1, v1, v22
	v_sub_f32_e32 v8, v23, v25
	v_mov_b32_e32 v22, v9
	v_add_f32_e32 v18, v23, v25
	v_fmac_f32_e32 v22, 0xbf5db3d7, v8
	v_fmac_f32_e32 v9, 0x3f5db3d7, v8
	v_add_f32_e32 v8, v10, v23
	v_fmac_f32_e32 v10, -0.5, v18
	v_sub_f32_e32 v18, v34, v24
	v_mov_b32_e32 v23, v10
	v_fmac_f32_e32 v23, 0x3f5db3d7, v18
	v_fmac_f32_e32 v10, 0xbf5db3d7, v18
	v_add_f32_e32 v18, v14, v35
	v_add_f32_e32 v7, v7, v24
	v_add_f32_e32 v24, v18, v38
	v_add_f32_e32 v18, v35, v38
	v_fma_f32 v14, -0.5, v18, v14
	v_sub_f32_e32 v18, v42, v39
	v_mov_b32_e32 v26, v14
	v_fmac_f32_e32 v26, 0xbf5db3d7, v18
	v_fmac_f32_e32 v14, 0x3f5db3d7, v18
	v_add_f32_e32 v18, v15, v42
	v_add_f32_e32 v8, v8, v25
	v_add_f32_e32 v25, v18, v39
	v_add_f32_e32 v18, v42, v39
	v_fmac_f32_e32 v15, -0.5, v18
	v_sub_f32_e32 v18, v35, v38
	v_mov_b32_e32 v27, v15
	v_add_f32_e32 v19, v21, v41
	v_fmac_f32_e32 v27, 0x3f5db3d7, v18
	v_fmac_f32_e32 v15, 0xbf5db3d7, v18
	v_add_f32_e32 v18, v16, v21
	v_fma_f32 v16, -0.5, v19, v16
	v_add_f32_e32 v2, v2, v20
	v_sub_f32_e32 v19, v40, v43
	v_mov_b32_e32 v20, v16
	v_add_f32_e32 v31, v40, v43
	v_fmac_f32_e32 v20, 0xbf5db3d7, v19
	v_fmac_f32_e32 v16, 0x3f5db3d7, v19
	v_add_f32_e32 v19, v17, v40
	v_fmac_f32_e32 v17, -0.5, v31
	v_sub_f32_e32 v31, v21, v41
	v_mov_b32_e32 v21, v17
	v_lshrrev_b32_e32 v34, 2, v11
	v_fmac_f32_e32 v21, 0x3f5db3d7, v31
	v_fmac_f32_e32 v17, 0xbf5db3d7, v31
	v_lshrrev_b32_e32 v31, 2, v98
	v_mul_lo_u32 v34, v34, 12
	v_mul_u32_u24_e32 v31, 12, v31
	v_or_b32_e32 v31, v31, v33
	v_mul_u32_u24_e32 v31, 0xc0, v31
	v_or_b32_e32 v34, v34, v33
	v_add3_u32 v31, 0, v31, v30
	v_mul_lo_u32 v34, v34, s2
	ds_write2_b64 v31, v[1:2], v[5:6] offset1:96
	ds_write_b64 v31, v[3:4] offset:1536
	v_lshrrev_b32_e32 v2, 2, v32
	v_lshrrev_b32_e32 v3, 2, v28
	v_mul_lo_u32 v2, v2, 12
	v_mul_lo_u32 v3, v3, 12
	v_add3_u32 v1, 0, v34, v30
	ds_write2_b64 v1, v[7:8], v[22:23] offset1:96
	v_or_b32_e32 v2, v2, v33
	ds_write_b64 v1, v[9:10] offset:1536
	v_or_b32_e32 v1, v3, v33
	v_mul_lo_u32 v2, v2, s2
	v_mul_lo_u32 v1, v1, s2
	v_add_f32_e32 v18, v18, v41
	v_add_f32_e32 v19, v19, v43
	v_add3_u32 v2, 0, v2, v30
	v_add3_u32 v1, 0, v1, v30
	ds_write2_b64 v2, v[24:25], v[26:27] offset1:96
	ds_write_b64 v2, v[14:15] offset:1536
	ds_write2_b64 v1, v[18:19], v[20:21] offset1:96
	ds_write_b64 v1, v[16:17] offset:1536
	v_add_u32_e32 v1, 0x100, v36
	s_waitcnt lgkmcnt(0)
	s_barrier
	ds_read2st64_b64 v[1:4], v1 offset0:4 offset1:13
	ds_read_b64 v[5:6], v36
	ds_read_b64 v[32:33], v36 offset:9216
	ds_read_b64 v[30:31], v36 offset:11520
	;; [unrolled: 1-line block ×3, first 2 shown]
	ds_read_b64 v[34:35], v29
	ds_read_b64 v[9:10], v36 offset:16128
	s_movk_i32 s2, 0x60
	v_cmp_gt_u32_e64 s[2:3], s2, v0
                                        ; implicit-def: $vgpr23
                                        ; implicit-def: $vgpr25
                                        ; implicit-def: $vgpr27
                                        ; implicit-def: $vgpr29
	s_and_saveexec_b64 s[18:19], s[2:3]
	s_cbranch_execz .LBB0_16
; %bb.15:
	ds_read_b64 v[18:19], v36 offset:3840
	ds_read_b64 v[20:21], v36 offset:6144
	;; [unrolled: 1-line block ×6, first 2 shown]
	ds_read_b64 v[14:15], v37
	ds_read_b64 v[28:29], v36 offset:17664
.LBB0_16:
	s_or_b64 exec, exec, s[18:19]
	v_mul_lo_u16_e32 v0, 22, v98
	v_mov_b32_e32 v36, 12
	v_mul_lo_u16_sdwa v0, v0, v36 dst_sel:DWORD dst_unused:UNUSED_PAD src0_sel:BYTE_1 src1_sel:DWORD
	v_sub_u16_e32 v0, v98, v0
	v_and_b32_e32 v101, 0xff, v0
	v_mul_u32_u24_e32 v0, 7, v101
	v_lshlrev_b32_e32 v0, 3, v0
	global_load_dwordx4 v[37:40], v0, s[16:17] offset:64
	global_load_dwordx4 v[41:44], v0, s[16:17] offset:80
	global_load_dwordx4 v[45:48], v0, s[16:17] offset:96
	global_load_dwordx2 v[49:50], v0, s[16:17] offset:112
	v_mul_lo_u32 v55, v12, v101
	s_load_dwordx2 s[4:5], s[4:5], 0x8
	v_mov_b32_e32 v0, 3
	v_add_u32_e32 v102, 12, v101
	v_lshlrev_b32_sdwa v36, v0, v55 dst_sel:DWORD dst_unused:UNUSED_PAD src0_sel:DWORD src1_sel:BYTE_0
	v_lshlrev_b32_sdwa v56, v0, v55 dst_sel:DWORD dst_unused:UNUSED_PAD src0_sel:DWORD src1_sel:BYTE_1
	s_waitcnt lgkmcnt(0)
	global_load_dwordx2 v[51:52], v36, s[4:5]
	global_load_dwordx2 v[53:54], v56, s[4:5] offset:2048
	s_movk_i32 s18, 0xab
	v_mul_lo_u32 v61, v12, v102
	v_mul_lo_u16_sdwa v56, v11, s18 dst_sel:DWORD dst_unused:UNUSED_PAD src0_sel:BYTE_0 src1_sel:DWORD
	v_mov_b32_e32 v36, 0x1000
	v_lshrrev_b16_e32 v56, 11, v56
	v_bfe_u32 v55, v55, 16, 8
	v_mul_lo_u16_e32 v56, 12, v56
	v_lshl_or_b32 v62, v55, 3, v36
	v_sub_u16_e32 v11, v11, v56
	v_lshlrev_b32_sdwa v63, v0, v61 dst_sel:DWORD dst_unused:UNUSED_PAD src0_sel:DWORD src1_sel:BYTE_0
	v_lshlrev_b32_sdwa v64, v0, v61 dst_sel:DWORD dst_unused:UNUSED_PAD src0_sel:DWORD src1_sel:BYTE_1
	global_load_dwordx2 v[55:56], v62, s[4:5]
	global_load_dwordx2 v[57:58], v63, s[4:5]
	global_load_dwordx2 v[59:60], v64, s[4:5] offset:2048
	v_add_u32_e32 v103, 24, v101
	v_add_u32_e32 v104, 36, v101
	;; [unrolled: 1-line block ×5, first 2 shown]
	s_andn2_b64 vcc, exec, s[0:1]
	s_waitcnt vmcnt(8)
	v_mul_f32_e32 v62, v40, v35
	v_mul_f32_e32 v40, v40, v34
	v_mul_f32_e32 v63, v38, v2
	v_mul_f32_e32 v38, v38, v1
	s_waitcnt vmcnt(7)
	v_mul_f32_e32 v64, v42, v4
	v_mul_f32_e32 v42, v42, v3
	v_mul_f32_e32 v65, v44, v33
	v_mul_f32_e32 v44, v44, v32
	;; [unrolled: 5-line block ×3, first 2 shown]
	s_waitcnt vmcnt(5)
	v_mul_f32_e32 v68, v50, v10
	v_mul_f32_e32 v50, v50, v9
	v_fmac_f32_e32 v62, v39, v34
	v_fma_f32 v34, v39, v35, -v40
	v_fmac_f32_e32 v63, v37, v1
	v_fma_f32 v1, v37, v2, -v38
	;; [unrolled: 2-line block ×3, first 2 shown]
	v_fma_f32 v3, v43, v33, -v44
	v_fma_f32 v4, v45, v31, -v46
	v_fmac_f32_e32 v67, v47, v7
	v_fma_f32 v7, v47, v8, -v48
	v_fma_f32 v8, v49, v10, -v50
	v_fmac_f32_e32 v65, v43, v32
	v_fmac_f32_e32 v66, v45, v30
	;; [unrolled: 1-line block ×3, first 2 shown]
	v_sub_f32_e32 v3, v6, v3
	v_sub_f32_e32 v7, v34, v7
	;; [unrolled: 1-line block ×8, first 2 shown]
	v_fma_f32 v6, v6, 2.0, -v3
	v_fma_f32 v33, v34, 2.0, -v7
	;; [unrolled: 1-line block ×8, first 2 shown]
	v_sub_f32_e32 v46, v3, v10
	v_sub_f32_e32 v62, v6, v33
	;; [unrolled: 1-line block ×3, first 2 shown]
	v_add_f32_e32 v47, v30, v8
	v_sub_f32_e32 v50, v5, v32
	v_fma_f32 v63, v3, 2.0, -v46
	v_sub_f32_e32 v64, v34, v35
	v_fma_f32 v3, v6, 2.0, -v62
	v_fma_f32 v1, v1, 2.0, -v65
	v_mul_lo_u32 v8, v12, v103
	v_add_f32_e32 v45, v9, v7
	v_fma_f32 v2, v5, 2.0, -v50
	v_fma_f32 v5, v34, 2.0, -v64
	v_sub_f32_e32 v72, v3, v1
	v_bfe_u32 v1, v61, 16, 8
	v_fma_f32 v43, v9, 2.0, -v45
	v_sub_f32_e32 v71, v2, v5
	v_lshl_or_b32 v1, v1, 3, v36
	v_sub_f32_e32 v70, v4, v31
	v_fma_f32 v44, v30, 2.0, -v47
	v_fma_f32 v66, v2, 2.0, -v71
	v_mov_b32_e32 v73, v43
	global_load_dwordx2 v[1:2], v1, s[4:5]
	v_fma_f32 v7, v4, 2.0, -v70
	v_fma_f32 v31, v3, 2.0, -v72
	s_waitcnt vmcnt(4)
	v_mul_f32_e32 v3, v52, v54
	v_lshlrev_b32_sdwa v10, v0, v8 dst_sel:DWORD dst_unused:UNUSED_PAD src0_sel:DWORD src1_sel:BYTE_0
	v_fmac_f32_e32 v73, 0xbf3504f3, v44
	v_mov_b32_e32 v74, v63
	v_mul_lo_u32 v34, v12, v104
	v_fma_f32 v9, v51, v53, -v3
	v_lshlrev_b32_sdwa v32, v0, v8 dst_sel:DWORD dst_unused:UNUSED_PAD src0_sel:DWORD src1_sel:BYTE_1
	global_load_dwordx2 v[3:4], v10, s[4:5]
	global_load_dwordx2 v[5:6], v32, s[4:5] offset:2048
	v_fmac_f32_e32 v74, 0xbf3504f3, v7
	v_fmac_f32_e32 v73, 0x3f3504f3, v7
	v_bfe_u32 v7, v8, 16, 8
	v_mul_f32_e32 v30, v51, v54
	v_lshl_or_b32 v7, v7, 3, v36
	v_fmac_f32_e32 v30, v52, v53
	global_load_dwordx2 v[7:8], v7, s[4:5]
	s_waitcnt vmcnt(6)
	v_mul_f32_e32 v10, v30, v56
	v_lshlrev_b32_sdwa v37, v0, v34 dst_sel:DWORD dst_unused:UNUSED_PAD src0_sel:DWORD src1_sel:BYTE_0
	v_fma_f32 v51, v55, v9, -v10
	v_mul_f32_e32 v35, v9, v56
	v_lshlrev_b32_sdwa v38, v0, v34 dst_sel:DWORD dst_unused:UNUSED_PAD src0_sel:DWORD src1_sel:BYTE_1
	global_load_dwordx2 v[9:10], v37, s[4:5]
	global_load_dwordx2 v[32:33], v38, s[4:5] offset:2048
	v_or_b32_e32 v37, 48, v101
	v_fmac_f32_e32 v35, v55, v30
	v_bfe_u32 v34, v34, 16, 8
	v_mul_lo_u32 v41, v12, v37
	v_mul_f32_e32 v30, v31, v35
	v_mul_f32_e32 v35, v66, v35
	v_lshl_or_b32 v34, v34, 3, v36
	v_fma_f32 v31, v31, v51, -v35
	global_load_dwordx2 v[34:35], v34, s[4:5]
	s_waitcnt vmcnt(7)
	v_mul_f32_e32 v37, v58, v60
	v_lshlrev_b32_sdwa v42, v0, v41 dst_sel:DWORD dst_unused:UNUSED_PAD src0_sel:DWORD src1_sel:BYTE_0
	v_fma_f32 v56, v57, v59, -v37
	v_lshlrev_b32_sdwa v48, v0, v41 dst_sel:DWORD dst_unused:UNUSED_PAD src0_sel:DWORD src1_sel:BYTE_1
	global_load_dwordx2 v[37:38], v42, s[4:5]
	global_load_dwordx2 v[39:40], v48, s[4:5] offset:2048
	v_bfe_u32 v41, v41, 16, 8
	v_mul_lo_u32 v52, v12, v105
	v_lshl_or_b32 v41, v41, 3, v36
	global_load_dwordx2 v[41:42], v41, s[4:5]
	v_mul_f32_e32 v57, v57, v60
	v_fma_f32 v67, v43, 2.0, -v73
	v_lshlrev_b32_sdwa v43, v0, v52 dst_sel:DWORD dst_unused:UNUSED_PAD src0_sel:DWORD src1_sel:BYTE_0
	v_lshlrev_b32_sdwa v48, v0, v52 dst_sel:DWORD dst_unused:UNUSED_PAD src0_sel:DWORD src1_sel:BYTE_1
	v_mul_lo_u32 v60, v12, v106
	v_fmac_f32_e32 v74, 0xbf3504f3, v44
	global_load_dwordx2 v[43:44], v43, s[4:5]
	v_bfe_u32 v52, v52, 16, 8
	global_load_dwordx2 v[48:49], v48, s[4:5] offset:2048
	v_lshl_or_b32 v52, v52, 3, v36
	global_load_dwordx2 v[52:53], v52, s[4:5]
	v_add_f32_e32 v76, v50, v65
	v_fma_f32 v78, v50, 2.0, -v76
	v_lshlrev_b32_sdwa v50, v0, v60 dst_sel:DWORD dst_unused:UNUSED_PAD src0_sel:DWORD src1_sel:BYTE_0
	v_fmac_f32_e32 v57, v58, v59
	v_lshlrev_b32_sdwa v61, v0, v60 dst_sel:DWORD dst_unused:UNUSED_PAD src0_sel:DWORD src1_sel:BYTE_1
	global_load_dwordx2 v[54:55], v50, s[4:5]
	global_load_dwordx2 v[58:59], v61, s[4:5] offset:2048
	v_bfe_u32 v50, v60, 16, 8
	v_lshl_or_b32 v50, v50, 3, v36
	global_load_dwordx2 v[60:61], v50, s[4:5]
	v_mul_lo_u32 v50, v12, v107
	v_sub_f32_e32 v77, v62, v64
	v_fma_f32 v75, v63, 2.0, -v74
	v_fma_f32 v79, v62, 2.0, -v77
	v_lshlrev_b32_sdwa v68, v0, v50 dst_sel:DWORD dst_unused:UNUSED_PAD src0_sel:DWORD src1_sel:BYTE_0
	v_lshlrev_b32_sdwa v69, v0, v50 dst_sel:DWORD dst_unused:UNUSED_PAD src0_sel:DWORD src1_sel:BYTE_1
	global_load_dwordx2 v[62:63], v68, s[4:5]
	global_load_dwordx2 v[64:65], v69, s[4:5] offset:2048
	v_bfe_u32 v50, v50, 16, 8
	v_lshl_or_b32 v50, v50, 3, v36
	global_load_dwordx2 v[68:69], v50, s[4:5]
	v_fmac_f32_e32 v30, v66, v51
	v_mov_b32_e32 v80, v45
	v_mov_b32_e32 v81, v46
	v_fmac_f32_e32 v80, 0x3f3504f3, v47
	v_fmac_f32_e32 v81, 0x3f3504f3, v70
	;; [unrolled: 1-line block ×4, first 2 shown]
	s_waitcnt vmcnt(18)
	v_mul_f32_e32 v50, v57, v2
	v_mul_f32_e32 v2, v56, v2
	v_fmac_f32_e32 v2, v1, v57
	v_fma_f32 v51, v1, v56, -v50
	v_mul_f32_e32 v50, v75, v2
	v_mul_f32_e32 v1, v67, v2
	v_fmac_f32_e32 v50, v67, v51
	v_fma_f32 v51, v75, v51, -v1
	s_waitcnt vmcnt(16)
	v_mul_f32_e32 v2, v3, v6
	v_mul_f32_e32 v1, v4, v6
	v_fmac_f32_e32 v2, v4, v5
	v_fma_f32 v1, v3, v5, -v1
	v_fma_f32 v4, v46, 2.0, -v81
	s_waitcnt vmcnt(15)
	v_mul_f32_e32 v3, v2, v8
	v_fma_f32 v3, v7, v1, -v3
	v_mul_f32_e32 v1, v1, v8
	v_fmac_f32_e32 v1, v7, v2
	v_mul_f32_e32 v66, v79, v1
	v_mul_f32_e32 v1, v78, v1
	s_waitcnt vmcnt(13)
	v_mul_f32_e32 v2, v9, v33
	v_fma_f32 v67, v79, v3, -v1
	v_mul_f32_e32 v1, v10, v33
	v_fmac_f32_e32 v2, v10, v32
	v_fma_f32 v1, v9, v32, -v1
	v_fmac_f32_e32 v66, v78, v3
	v_fma_f32 v3, v45, 2.0, -v80
	s_waitcnt vmcnt(12)
	v_mul_f32_e32 v5, v2, v35
	v_fma_f32 v5, v34, v1, -v5
	v_mul_f32_e32 v1, v1, v35
	v_fmac_f32_e32 v1, v34, v2
	v_mul_f32_e32 v46, v4, v1
	v_mul_f32_e32 v1, v3, v1
	s_waitcnt vmcnt(10)
	v_mul_f32_e32 v2, v37, v40
	v_fma_f32 v47, v4, v5, -v1
	v_mul_f32_e32 v1, v38, v40
	v_fmac_f32_e32 v2, v38, v39
	v_fmac_f32_e32 v46, v3, v5
	v_fma_f32 v1, v37, v39, -v1
	s_waitcnt vmcnt(9)
	v_mul_f32_e32 v3, v2, v42
	v_fma_f32 v3, v41, v1, -v3
	v_mul_f32_e32 v1, v1, v42
	v_fmac_f32_e32 v1, v41, v2
	v_mul_f32_e32 v56, v72, v1
	v_mul_f32_e32 v1, v71, v1
	s_waitcnt vmcnt(7)
	v_mul_f32_e32 v2, v43, v49
	v_fma_f32 v57, v72, v3, -v1
	v_mul_f32_e32 v1, v44, v49
	v_fmac_f32_e32 v2, v44, v48
	v_fmac_f32_e32 v56, v71, v3
	v_fma_f32 v1, v43, v48, -v1
	s_waitcnt vmcnt(6)
	v_mul_f32_e32 v3, v2, v53
	v_fma_f32 v3, v52, v1, -v3
	v_mul_f32_e32 v1, v1, v53
	v_fmac_f32_e32 v1, v52, v2
	v_mul_f32_e32 v38, v74, v1
	v_mul_f32_e32 v1, v73, v1
	v_fmac_f32_e32 v38, v73, v3
	v_fma_f32 v39, v74, v3, -v1
	s_waitcnt vmcnt(4)
	v_mul_f32_e32 v3, v54, v59
	v_mul_f32_e32 v1, v55, v59
	v_fmac_f32_e32 v3, v55, v58
	v_fma_f32 v1, v54, v58, -v1
	s_waitcnt vmcnt(3)
	v_mul_f32_e32 v4, v3, v61
	v_fma_f32 v4, v60, v1, -v4
	v_mul_f32_e32 v1, v1, v61
	v_and_b32_e32 v2, 0xff, v11
	v_fmac_f32_e32 v1, v60, v3
	v_mul_f32_e32 v82, v77, v1
	v_mul_f32_e32 v1, v76, v1
	s_waitcnt vmcnt(1)
	v_mul_f32_e32 v3, v62, v65
	v_add_u32_e32 v37, 60, v2
	v_fma_f32 v83, v77, v4, -v1
	v_mul_f32_e32 v1, v63, v65
	v_fmac_f32_e32 v3, v63, v64
	v_mul_lo_u32 v37, v12, v37
	v_fmac_f32_e32 v82, v76, v4
	v_fma_f32 v1, v62, v64, -v1
	s_waitcnt vmcnt(0)
	v_mul_f32_e32 v4, v3, v69
	v_fma_f32 v4, v68, v1, -v4
	v_mul_f32_e32 v1, v1, v69
	v_fmac_f32_e32 v1, v68, v3
	v_mul_f32_e32 v88, v81, v1
	v_mul_f32_e32 v1, v80, v1
	v_lshlrev_b32_sdwa v58, v0, v37 dst_sel:DWORD dst_unused:UNUSED_PAD src0_sel:DWORD src1_sel:BYTE_0
	v_lshlrev_b32_sdwa v59, v0, v37 dst_sel:DWORD dst_unused:UNUSED_PAD src0_sel:DWORD src1_sel:BYTE_1
	v_bfe_u32 v37, v37, 16, 8
	v_fmac_f32_e32 v88, v80, v4
	v_fma_f32 v89, v81, v4, -v1
	v_add_u32_e32 v4, 12, v2
	v_add_u32_e32 v7, 24, v2
	;; [unrolled: 1-line block ×3, first 2 shown]
	v_or_b32_e32 v33, 48, v2
	v_add_u32_e32 v41, 0x48, v2
	v_lshl_or_b32 v108, v37, 3, v36
	v_add_u32_e32 v37, 0x54, v2
	v_mul_lo_u32 v3, v12, v2
	v_mul_lo_u32 v4, v12, v4
	;; [unrolled: 1-line block ×7, first 2 shown]
	v_lshlrev_b32_sdwa v1, v0, v3 dst_sel:DWORD dst_unused:UNUSED_PAD src0_sel:DWORD src1_sel:BYTE_0
	v_lshlrev_b32_sdwa v5, v0, v3 dst_sel:DWORD dst_unused:UNUSED_PAD src0_sel:DWORD src1_sel:BYTE_1
	v_bfe_u32 v3, v3, 16, 8
	v_lshlrev_b32_sdwa v6, v0, v4 dst_sel:DWORD dst_unused:UNUSED_PAD src0_sel:DWORD src1_sel:BYTE_0
	v_lshlrev_b32_sdwa v8, v0, v4 dst_sel:DWORD dst_unused:UNUSED_PAD src0_sel:DWORD src1_sel:BYTE_1
	v_bfe_u32 v4, v4, 16, 8
	;; [unrolled: 3-line block ×5, first 2 shown]
	v_lshlrev_b32_sdwa v109, v0, v41 dst_sel:DWORD dst_unused:UNUSED_PAD src0_sel:DWORD src1_sel:BYTE_0
	v_lshlrev_b32_sdwa v110, v0, v41 dst_sel:DWORD dst_unused:UNUSED_PAD src0_sel:DWORD src1_sel:BYTE_1
	v_lshlrev_b32_sdwa v112, v0, v37 dst_sel:DWORD dst_unused:UNUSED_PAD src0_sel:DWORD src1_sel:BYTE_0
	v_lshlrev_b32_sdwa v113, v0, v37 dst_sel:DWORD dst_unused:UNUSED_PAD src0_sel:DWORD src1_sel:BYTE_1
	v_bfe_u32 v0, v37, 16, 8
	v_lshl_or_b32 v3, v3, 3, v36
	v_lshl_or_b32 v4, v4, 3, v36
	;; [unrolled: 1-line block ×5, first 2 shown]
	v_bfe_u32 v41, v41, 16, 8
	v_lshl_or_b32 v114, v0, 3, v36
	v_mul_u32_u24_e32 v0, 7, v2
	v_lshl_or_b32 v111, v41, 3, v36
	v_lshlrev_b32_e32 v115, 3, v0
	global_load_dwordx2 v[92:93], v1, s[4:5]
	global_load_dwordx2 v[94:95], v5, s[4:5] offset:2048
	global_load_dwordx2 v[90:91], v3, s[4:5]
	global_load_dwordx2 v[84:85], v6, s[4:5]
	global_load_dwordx2 v[86:87], v8, s[4:5] offset:2048
	global_load_dwordx2 v[80:81], v4, s[4:5]
	;; [unrolled: 3-line block ×5, first 2 shown]
                                        ; kill: killed $vgpr33
                                        ; kill: killed $vgpr1
                                        ; kill: killed $vgpr40
                                        ; kill: killed $vgpr10
                                        ; kill: killed $vgpr35
                                        ; kill: killed $vgpr34
                                        ; kill: killed $vgpr7
                                        ; kill: killed $vgpr32
                                        ; kill: killed $vgpr11
                                        ; kill: killed $vgpr4
                                        ; kill: killed $vgpr9
                                        ; kill: killed $vgpr8
                                        ; kill: killed $vgpr3
                                        ; kill: killed $vgpr6
                                        ; kill: killed $vgpr5
	global_load_dwordx2 v[62:63], v58, s[4:5]
	global_load_dwordx2 v[64:65], v59, s[4:5] offset:2048
	global_load_dwordx2 v[54:55], v108, s[4:5]
	global_load_dwordx2 v[42:43], v109, s[4:5]
	global_load_dwordx2 v[44:45], v110, s[4:5] offset:2048
	global_load_dwordx2 v[40:41], v111, s[4:5]
	;; [unrolled: 3-line block ×3, first 2 shown]
	global_load_dwordx2 v[96:97], v115, s[16:17] offset:112
	global_load_dwordx4 v[0:3], v115, s[16:17] offset:96
	global_load_dwordx4 v[4:7], v115, s[16:17] offset:80
	;; [unrolled: 1-line block ×3, first 2 shown]
	s_cbranch_vccnz .LBB0_18
; %bb.17:
	v_mad_u64_u32 v[58:59], s[0:1], s12, v100, 0
	v_mad_u64_u32 v[108:109], s[0:1], s8, v101, 0
	s_waitcnt vmcnt(14)
	v_mad_u64_u32 v[110:111], s[0:1], s13, v100, v[59:60]
	v_mov_b32_e32 v59, v109
	v_mad_u64_u32 v[111:112], s[0:1], s9, v101, v[59:60]
	s_lshl_b64 s[0:1], s[6:7], 3
	s_add_u32 s4, s14, s0
	s_addc_u32 s0, s15, s1
	v_mov_b32_e32 v59, v110
	v_mov_b32_e32 v109, v111
	;; [unrolled: 1-line block ×3, first 2 shown]
	v_mad_u64_u32 v[110:111], s[0:1], s8, v102, 0
	v_lshlrev_b64 v[58:59], 3, v[58:59]
	v_lshlrev_b64 v[108:109], 3, v[108:109]
	v_add_co_u32_e32 v58, vcc, s4, v58
	v_addc_co_u32_e32 v59, vcc, v112, v59, vcc
	v_mad_u64_u32 v[111:112], s[0:1], s9, v102, v[111:112]
	v_add_co_u32_e32 v108, vcc, v58, v108
	v_addc_co_u32_e32 v109, vcc, v59, v109, vcc
	global_store_dwordx2 v[108:109], v[30:31], off
	v_lshlrev_b64 v[108:109], 3, v[110:111]
	v_mad_u64_u32 v[110:111], s[0:1], s8, v103, 0
	v_add_co_u32_e32 v108, vcc, v58, v108
	v_mad_u64_u32 v[111:112], s[0:1], s9, v103, v[111:112]
	v_mad_u64_u32 v[112:113], s[0:1], s8, v104, 0
	v_addc_co_u32_e32 v109, vcc, v59, v109, vcc
	global_store_dwordx2 v[108:109], v[50:51], off
	v_lshlrev_b64 v[108:109], 3, v[110:111]
	v_mov_b32_e32 v110, v113
	v_mad_u64_u32 v[110:111], s[0:1], s9, v104, v[110:111]
	v_add_co_u32_e32 v108, vcc, v58, v108
	v_addc_co_u32_e32 v109, vcc, v59, v109, vcc
	v_mov_b32_e32 v113, v110
	global_store_dwordx2 v[108:109], v[66:67], off
	v_lshlrev_b64 v[108:109], 3, v[112:113]
	v_add_u32_e32 v112, 48, v101
	v_mad_u64_u32 v[110:111], s[0:1], s8, v112, 0
	v_add_co_u32_e32 v108, vcc, v58, v108
	v_mad_u64_u32 v[111:112], s[0:1], s9, v112, v[111:112]
	v_mad_u64_u32 v[112:113], s[0:1], s8, v105, 0
	v_addc_co_u32_e32 v109, vcc, v59, v109, vcc
	global_store_dwordx2 v[108:109], v[46:47], off
	v_lshlrev_b64 v[108:109], 3, v[110:111]
	v_mov_b32_e32 v110, v113
	v_mad_u64_u32 v[110:111], s[0:1], s9, v105, v[110:111]
	v_add_co_u32_e32 v108, vcc, v58, v108
	v_mov_b32_e32 v113, v110
	v_mad_u64_u32 v[110:111], s[0:1], s8, v106, 0
	v_addc_co_u32_e32 v109, vcc, v59, v109, vcc
	global_store_dwordx2 v[108:109], v[56:57], off
	v_lshlrev_b64 v[108:109], 3, v[112:113]
	v_mad_u64_u32 v[111:112], s[0:1], s9, v106, v[111:112]
	v_mad_u64_u32 v[112:113], s[0:1], s8, v107, 0
	v_add_co_u32_e32 v108, vcc, v58, v108
	v_mov_b32_e32 v106, v113
	v_addc_co_u32_e32 v109, vcc, v59, v109, vcc
	v_mad_u64_u32 v[106:107], s[0:1], s9, v107, v[106:107]
	global_store_dwordx2 v[108:109], v[38:39], off
	v_lshlrev_b64 v[108:109], 3, v[110:111]
	v_mov_b32_e32 v113, v106
	v_add_co_u32_e32 v107, vcc, v58, v108
	v_addc_co_u32_e32 v108, vcc, v59, v109, vcc
	global_store_dwordx2 v[107:108], v[82:83], off
	v_lshlrev_b64 v[106:107], 3, v[112:113]
	v_add_co_u32_e32 v106, vcc, v58, v106
	v_addc_co_u32_e32 v107, vcc, v59, v107, vcc
	s_and_b64 s[0:1], s[2:3], exec
	global_store_dwordx2 v[106:107], v[88:89], off
	s_cbranch_execz .LBB0_19
	s_branch .LBB0_22
.LBB0_18:
	s_mov_b64 s[0:1], 0
                                        ; implicit-def: $vgpr58_vgpr59
.LBB0_19:
	v_cmp_gt_u64_e32 vcc, s[10:11], v[12:13]
                                        ; implicit-def: $vgpr58_vgpr59
	s_and_saveexec_b64 s[4:5], vcc
	s_cbranch_execz .LBB0_21
; %bb.20:
	v_mad_u64_u32 v[12:13], s[10:11], s12, v100, 0
	v_mad_u64_u32 v[106:107], s[10:11], s8, v101, 0
	;; [unrolled: 1-line block ×3, first 2 shown]
	v_mov_b32_e32 v13, v107
	v_mad_u64_u32 v[107:108], s[10:11], s9, v101, v[13:14]
	v_mov_b32_e32 v13, v58
	s_lshl_b64 s[6:7], s[6:7], 3
	s_add_u32 s10, s14, s6
	v_lshlrev_b64 v[12:13], 3, v[12:13]
	s_addc_u32 s6, s15, s7
	v_mov_b32_e32 v59, s6
	v_mad_u64_u32 v[108:109], s[6:7], s8, v102, 0
	v_add_co_u32_e32 v58, vcc, s10, v12
	v_addc_co_u32_e32 v59, vcc, v59, v13, vcc
	v_lshlrev_b64 v[12:13], 3, v[106:107]
	v_mov_b32_e32 v100, v109
	v_add_co_u32_e32 v12, vcc, v58, v12
	v_addc_co_u32_e32 v13, vcc, v59, v13, vcc
	v_mad_u64_u32 v[106:107], s[6:7], s9, v102, v[100:101]
	global_store_dwordx2 v[12:13], v[30:31], off
	v_mad_u64_u32 v[30:31], s[6:7], s8, v103, 0
	v_mov_b32_e32 v109, v106
	v_lshlrev_b64 v[12:13], 3, v[108:109]
	s_waitcnt vmcnt(5)
	v_mad_u64_u32 v[102:103], s[6:7], s9, v103, v[31:32]
	v_mad_u64_u32 v[106:107], s[6:7], s8, v104, 0
	v_add_co_u32_e32 v12, vcc, v58, v12
	v_addc_co_u32_e32 v13, vcc, v59, v13, vcc
	v_mov_b32_e32 v31, v102
	global_store_dwordx2 v[12:13], v[50:51], off
	v_lshlrev_b64 v[12:13], 3, v[30:31]
	v_mov_b32_e32 v30, v107
	v_mad_u64_u32 v[30:31], s[6:7], s9, v104, v[30:31]
	v_add_u32_e32 v50, 48, v101
	v_add_co_u32_e32 v12, vcc, v58, v12
	v_mov_b32_e32 v107, v30
	v_mad_u64_u32 v[30:31], s[6:7], s8, v50, 0
	v_addc_co_u32_e32 v13, vcc, v59, v13, vcc
	v_mad_u64_u32 v[50:51], s[6:7], s9, v50, v[31:32]
	global_store_dwordx2 v[12:13], v[66:67], off
	v_lshlrev_b64 v[12:13], 3, v[106:107]
	v_mad_u64_u32 v[66:67], s[6:7], s8, v105, 0
	v_add_co_u32_e32 v12, vcc, v58, v12
	v_addc_co_u32_e32 v13, vcc, v59, v13, vcc
	v_mov_b32_e32 v31, v50
	global_store_dwordx2 v[12:13], v[46:47], off
	v_lshlrev_b64 v[12:13], 3, v[30:31]
	v_mov_b32_e32 v30, v67
	v_mad_u64_u32 v[30:31], s[6:7], s9, v105, v[30:31]
	v_add_u32_e32 v46, 0x48, v101
	v_add_co_u32_e32 v12, vcc, v58, v12
	v_mov_b32_e32 v67, v30
	v_mad_u64_u32 v[30:31], s[6:7], s8, v46, 0
	v_addc_co_u32_e32 v13, vcc, v59, v13, vcc
	v_mad_u64_u32 v[46:47], s[6:7], s9, v46, v[31:32]
	v_add_u32_e32 v47, 0x54, v101
	global_store_dwordx2 v[12:13], v[56:57], off
	v_lshlrev_b64 v[12:13], 3, v[66:67]
	v_mad_u64_u32 v[50:51], s[6:7], s8, v47, 0
	v_add_co_u32_e32 v12, vcc, v58, v12
	v_addc_co_u32_e32 v13, vcc, v59, v13, vcc
	v_mov_b32_e32 v31, v46
	global_store_dwordx2 v[12:13], v[38:39], off
	v_lshlrev_b64 v[12:13], 3, v[30:31]
	v_mov_b32_e32 v30, v51
	v_mad_u64_u32 v[30:31], s[6:7], s9, v47, v[30:31]
	v_add_co_u32_e32 v12, vcc, v58, v12
	v_addc_co_u32_e32 v13, vcc, v59, v13, vcc
	v_mov_b32_e32 v51, v30
	global_store_dwordx2 v[12:13], v[82:83], off
	v_lshlrev_b64 v[12:13], 3, v[50:51]
	s_andn2_b64 s[0:1], s[0:1], exec
	v_add_co_u32_e32 v12, vcc, v58, v12
	s_and_b64 s[2:3], s[2:3], exec
	v_addc_co_u32_e32 v13, vcc, v59, v13, vcc
	s_or_b64 s[0:1], s[0:1], s[2:3]
	global_store_dwordx2 v[12:13], v[88:89], off
.LBB0_21:
	s_or_b64 exec, exec, s[4:5]
.LBB0_22:
	s_and_saveexec_b64 s[2:3], s[0:1]
	s_cbranch_execnz .LBB0_24
; %bb.23:
	s_endpgm
.LBB0_24:
	s_waitcnt vmcnt(0)
	v_mul_f32_e32 v12, v19, v9
	v_mul_f32_e32 v9, v18, v9
	v_fmac_f32_e32 v12, v18, v8
	v_fma_f32 v8, v19, v8, -v9
	v_mul_f32_e32 v9, v21, v11
	v_mul_f32_e32 v11, v20, v11
	v_fmac_f32_e32 v9, v20, v10
	v_fma_f32 v10, v21, v10, -v11
	;; [unrolled: 4-line block ×7, first 2 shown]
	v_sub_f32_e32 v5, v14, v5
	v_sub_f32_e32 v6, v15, v6
	v_sub_f32_e32 v1, v9, v1
	v_sub_f32_e32 v2, v10, v2
	v_sub_f32_e32 v7, v12, v7
	v_sub_f32_e32 v0, v8, v0
	v_sub_f32_e32 v3, v11, v3
	v_sub_f32_e32 v13, v4, v13
	v_fma_f32 v14, v14, 2.0, -v5
	v_fma_f32 v15, v15, 2.0, -v6
	;; [unrolled: 1-line block ×8, first 2 shown]
	v_sub_f32_e32 v9, v14, v9
	v_sub_f32_e32 v10, v15, v10
	;; [unrolled: 1-line block ×4, first 2 shown]
	v_fma_f32 v14, v14, 2.0, -v9
	v_fma_f32 v15, v15, 2.0, -v10
	v_add_f32_e32 v2, v5, v2
	v_fma_f32 v12, v12, 2.0, -v11
	v_fma_f32 v8, v8, 2.0, -v4
	v_sub_f32_e32 v1, v6, v1
	v_fma_f32 v5, v5, 2.0, -v2
	v_add_f32_e32 v13, v7, v13
	v_sub_f32_e32 v12, v14, v12
	v_sub_f32_e32 v16, v15, v8
	v_fma_f32 v6, v6, 2.0, -v1
	v_sub_f32_e32 v3, v0, v3
	v_fma_f32 v7, v7, 2.0, -v13
	v_fma_f32 v8, v14, 2.0, -v12
	;; [unrolled: 1-line block ×3, first 2 shown]
	v_mov_b32_e32 v15, v5
	v_mov_b32_e32 v21, v1
	v_fma_f32 v0, v0, 2.0, -v3
	v_fmac_f32_e32 v15, 0xbf3504f3, v7
	v_mov_b32_e32 v17, v6
	v_fmac_f32_e32 v21, 0x3f3504f3, v3
	v_fmac_f32_e32 v17, 0xbf3504f3, v0
	;; [unrolled: 1-line block ×3, first 2 shown]
	v_mov_b32_e32 v20, v2
	v_fmac_f32_e32 v21, 0xbf3504f3, v13
	v_mul_f32_e32 v0, v93, v95
	v_sub_f32_e32 v19, v10, v11
	v_fmac_f32_e32 v20, 0x3f3504f3, v13
	v_fma_f32 v11, v1, 2.0, -v21
	v_fma_f32 v0, v92, v94, -v0
	v_mul_f32_e32 v1, v92, v95
	v_add_f32_e32 v18, v9, v4
	v_fmac_f32_e32 v20, 0x3f3504f3, v3
	v_fmac_f32_e32 v1, v93, v94
	v_mul_f32_e32 v3, v0, v91
	v_fmac_f32_e32 v17, 0xbf3504f3, v7
	v_fma_f32 v7, v9, 2.0, -v18
	v_fma_f32 v9, v10, 2.0, -v19
	;; [unrolled: 1-line block ×3, first 2 shown]
	v_mul_f32_e32 v2, v1, v91
	v_fmac_f32_e32 v3, v90, v1
	v_fma_f32 v2, v90, v0, -v2
	v_mul_f32_e32 v0, v14, v3
	v_mul_f32_e32 v1, v8, v3
	v_fmac_f32_e32 v0, v8, v2
	v_fma_f32 v1, v14, v2, -v1
	v_mul_f32_e32 v2, v85, v87
	v_fma_f32 v2, v84, v86, -v2
	v_mul_f32_e32 v3, v84, v87
	v_fmac_f32_e32 v3, v85, v86
	v_mul_f32_e32 v8, v2, v81
	v_fma_f32 v5, v5, 2.0, -v15
	v_fma_f32 v6, v6, 2.0, -v17
	v_mul_f32_e32 v4, v3, v81
	v_fmac_f32_e32 v8, v80, v3
	v_fma_f32 v4, v80, v2, -v4
	v_mul_f32_e32 v2, v6, v8
	v_mul_f32_e32 v3, v5, v8
	v_fmac_f32_e32 v2, v5, v4
	v_fma_f32 v3, v6, v4, -v3
	v_mul_f32_e32 v4, v77, v79
	v_fma_f32 v4, v76, v78, -v4
	v_mul_f32_e32 v5, v76, v79
	v_fmac_f32_e32 v5, v77, v78
	v_mul_f32_e32 v8, v4, v75
	v_mul_f32_e32 v6, v5, v75
	v_fmac_f32_e32 v8, v74, v5
	v_fma_f32 v6, v74, v4, -v6
	v_mul_f32_e32 v4, v9, v8
	v_mul_f32_e32 v5, v7, v8
	v_fmac_f32_e32 v4, v7, v6
	v_fma_f32 v5, v9, v6, -v5
	v_mul_f32_e32 v6, v71, v73
	v_fma_f32 v6, v70, v72, -v6
	v_mul_f32_e32 v7, v70, v73
	v_fmac_f32_e32 v7, v71, v72
	v_mul_f32_e32 v9, v6, v69
	;; [unrolled: 12-line block ×5, first 2 shown]
	v_mul_f32_e32 v14, v13, v41
	v_fmac_f32_e32 v15, v40, v13
	v_fma_f32 v14, v40, v12, -v14
	v_mul_f32_e32 v12, v19, v15
	v_mul_f32_e32 v13, v18, v15
	v_fmac_f32_e32 v12, v18, v14
	v_fma_f32 v13, v19, v14, -v13
	v_mul_f32_e32 v14, v35, v37
	v_mul_f32_e32 v15, v34, v37
	v_fma_f32 v14, v34, v36, -v14
	v_fmac_f32_e32 v15, v35, v36
	v_mul_f32_e32 v16, v15, v33
	v_mul_f32_e32 v18, v14, v33
	v_or_b32_e32 v19, 8, v98
	v_fma_f32 v17, v32, v14, -v16
	v_fmac_f32_e32 v18, v32, v15
	v_mad_u64_u32 v[14:15], s[0:1], s8, v19, 0
	v_mul_f32_e32 v16, v21, v18
	v_fmac_f32_e32 v16, v20, v17
	v_mul_f32_e32 v22, v20, v18
	v_mad_u64_u32 v[18:19], s[0:1], s9, v19, v[15:16]
	v_add_u32_e32 v23, 20, v98
	v_mad_u64_u32 v[19:20], s[0:1], s8, v23, 0
	v_mov_b32_e32 v15, v18
	v_lshlrev_b64 v[14:15], 3, v[14:15]
	v_mov_b32_e32 v18, v20
	v_add_co_u32_e32 v14, vcc, v58, v14
	v_addc_co_u32_e32 v15, vcc, v59, v15, vcc
	v_fma_f32 v17, v21, v17, -v22
	v_mad_u64_u32 v[20:21], s[0:1], s9, v23, v[18:19]
	global_store_dwordx2 v[14:15], v[0:1], off
	v_mad_u64_u32 v[14:15], s[0:1], s8, v99, 0
	v_lshlrev_b64 v[0:1], 3, v[19:20]
	v_add_u32_e32 v21, 44, v98
	v_mad_u64_u32 v[18:19], s[0:1], s9, v99, v[15:16]
	v_mad_u64_u32 v[19:20], s[0:1], s8, v21, 0
	v_add_co_u32_e32 v0, vcc, v58, v0
	v_addc_co_u32_e32 v1, vcc, v59, v1, vcc
	v_mov_b32_e32 v15, v18
	global_store_dwordx2 v[0:1], v[2:3], off
	v_lshlrev_b64 v[0:1], 3, v[14:15]
	v_mov_b32_e32 v2, v20
	v_mad_u64_u32 v[2:3], s[0:1], s9, v21, v[2:3]
	v_add_co_u32_e32 v0, vcc, v58, v0
	v_addc_co_u32_e32 v1, vcc, v59, v1, vcc
	global_store_dwordx2 v[0:1], v[4:5], off
	v_or_b32_e32 v4, 56, v98
	v_mov_b32_e32 v20, v2
	v_mad_u64_u32 v[2:3], s[0:1], s8, v4, 0
	v_add_u32_e32 v14, 0x44, v98
	v_lshlrev_b64 v[0:1], 3, v[19:20]
	v_mad_u64_u32 v[3:4], s[0:1], s9, v4, v[3:4]
	v_mad_u64_u32 v[4:5], s[0:1], s8, v14, 0
	v_add_co_u32_e32 v0, vcc, v58, v0
	v_addc_co_u32_e32 v1, vcc, v59, v1, vcc
	global_store_dwordx2 v[0:1], v[6:7], off
	v_lshlrev_b64 v[0:1], 3, v[2:3]
	v_mov_b32_e32 v2, v5
	v_mad_u64_u32 v[2:3], s[0:1], s9, v14, v[2:3]
	v_add_co_u32_e32 v0, vcc, v58, v0
	v_addc_co_u32_e32 v1, vcc, v59, v1, vcc
	v_mov_b32_e32 v5, v2
	global_store_dwordx2 v[0:1], v[8:9], off
	v_lshlrev_b64 v[0:1], 3, v[4:5]
	v_or_b32_e32 v4, 0x50, v98
	v_mad_u64_u32 v[2:3], s[0:1], s8, v4, 0
	v_add_u32_e32 v6, 0x5c, v98
	v_add_co_u32_e32 v0, vcc, v58, v0
	v_mad_u64_u32 v[3:4], s[0:1], s9, v4, v[3:4]
	v_mad_u64_u32 v[4:5], s[0:1], s8, v6, 0
	v_addc_co_u32_e32 v1, vcc, v59, v1, vcc
	global_store_dwordx2 v[0:1], v[10:11], off
	v_lshlrev_b64 v[0:1], 3, v[2:3]
	v_mov_b32_e32 v2, v5
	v_mad_u64_u32 v[2:3], s[0:1], s9, v6, v[2:3]
	v_add_co_u32_e32 v0, vcc, v58, v0
	v_addc_co_u32_e32 v1, vcc, v59, v1, vcc
	v_mov_b32_e32 v5, v2
	global_store_dwordx2 v[0:1], v[12:13], off
	v_lshlrev_b64 v[0:1], 3, v[4:5]
	v_add_co_u32_e32 v0, vcc, v58, v0
	v_addc_co_u32_e32 v1, vcc, v59, v1, vcc
	global_store_dwordx2 v[0:1], v[16:17], off
	s_endpgm
	.section	.rodata,"a",@progbits
	.p2align	6, 0x0
	.amdhsa_kernel fft_rtc_back_len96_factors_4_3_8_wgs_192_tpt_8_dim3_sp_ip_CI_sbcc_twdbase8_3step_dirReg
		.amdhsa_group_segment_fixed_size 0
		.amdhsa_private_segment_fixed_size 0
		.amdhsa_kernarg_size 88
		.amdhsa_user_sgpr_count 6
		.amdhsa_user_sgpr_private_segment_buffer 1
		.amdhsa_user_sgpr_dispatch_ptr 0
		.amdhsa_user_sgpr_queue_ptr 0
		.amdhsa_user_sgpr_kernarg_segment_ptr 1
		.amdhsa_user_sgpr_dispatch_id 0
		.amdhsa_user_sgpr_flat_scratch_init 0
		.amdhsa_user_sgpr_private_segment_size 0
		.amdhsa_uses_dynamic_stack 0
		.amdhsa_system_sgpr_private_segment_wavefront_offset 0
		.amdhsa_system_sgpr_workgroup_id_x 1
		.amdhsa_system_sgpr_workgroup_id_y 0
		.amdhsa_system_sgpr_workgroup_id_z 0
		.amdhsa_system_sgpr_workgroup_info 0
		.amdhsa_system_vgpr_workitem_id 0
		.amdhsa_next_free_vgpr 116
		.amdhsa_next_free_sgpr 26
		.amdhsa_reserve_vcc 1
		.amdhsa_reserve_flat_scratch 0
		.amdhsa_float_round_mode_32 0
		.amdhsa_float_round_mode_16_64 0
		.amdhsa_float_denorm_mode_32 3
		.amdhsa_float_denorm_mode_16_64 3
		.amdhsa_dx10_clamp 1
		.amdhsa_ieee_mode 1
		.amdhsa_fp16_overflow 0
		.amdhsa_exception_fp_ieee_invalid_op 0
		.amdhsa_exception_fp_denorm_src 0
		.amdhsa_exception_fp_ieee_div_zero 0
		.amdhsa_exception_fp_ieee_overflow 0
		.amdhsa_exception_fp_ieee_underflow 0
		.amdhsa_exception_fp_ieee_inexact 0
		.amdhsa_exception_int_div_zero 0
	.end_amdhsa_kernel
	.text
.Lfunc_end0:
	.size	fft_rtc_back_len96_factors_4_3_8_wgs_192_tpt_8_dim3_sp_ip_CI_sbcc_twdbase8_3step_dirReg, .Lfunc_end0-fft_rtc_back_len96_factors_4_3_8_wgs_192_tpt_8_dim3_sp_ip_CI_sbcc_twdbase8_3step_dirReg
                                        ; -- End function
	.section	.AMDGPU.csdata,"",@progbits
; Kernel info:
; codeLenInByte = 8360
; NumSgprs: 30
; NumVgprs: 116
; ScratchSize: 0
; MemoryBound: 0
; FloatMode: 240
; IeeeMode: 1
; LDSByteSize: 0 bytes/workgroup (compile time only)
; SGPRBlocks: 3
; VGPRBlocks: 28
; NumSGPRsForWavesPerEU: 30
; NumVGPRsForWavesPerEU: 116
; Occupancy: 2
; WaveLimiterHint : 1
; COMPUTE_PGM_RSRC2:SCRATCH_EN: 0
; COMPUTE_PGM_RSRC2:USER_SGPR: 6
; COMPUTE_PGM_RSRC2:TRAP_HANDLER: 0
; COMPUTE_PGM_RSRC2:TGID_X_EN: 1
; COMPUTE_PGM_RSRC2:TGID_Y_EN: 0
; COMPUTE_PGM_RSRC2:TGID_Z_EN: 0
; COMPUTE_PGM_RSRC2:TIDIG_COMP_CNT: 0
	.type	__hip_cuid_b503daa9aa7a092c,@object ; @__hip_cuid_b503daa9aa7a092c
	.section	.bss,"aw",@nobits
	.globl	__hip_cuid_b503daa9aa7a092c
__hip_cuid_b503daa9aa7a092c:
	.byte	0                               ; 0x0
	.size	__hip_cuid_b503daa9aa7a092c, 1

	.ident	"AMD clang version 19.0.0git (https://github.com/RadeonOpenCompute/llvm-project roc-6.4.0 25133 c7fe45cf4b819c5991fe208aaa96edf142730f1d)"
	.section	".note.GNU-stack","",@progbits
	.addrsig
	.addrsig_sym __hip_cuid_b503daa9aa7a092c
	.amdgpu_metadata
---
amdhsa.kernels:
  - .args:
      - .actual_access:  read_only
        .address_space:  global
        .offset:         0
        .size:           8
        .value_kind:     global_buffer
      - .address_space:  global
        .offset:         8
        .size:           8
        .value_kind:     global_buffer
      - .actual_access:  read_only
        .address_space:  global
        .offset:         16
        .size:           8
        .value_kind:     global_buffer
      - .actual_access:  read_only
        .address_space:  global
        .offset:         24
        .size:           8
        .value_kind:     global_buffer
      - .offset:         32
        .size:           8
        .value_kind:     by_value
      - .actual_access:  read_only
        .address_space:  global
        .offset:         40
        .size:           8
        .value_kind:     global_buffer
      - .actual_access:  read_only
        .address_space:  global
        .offset:         48
        .size:           8
        .value_kind:     global_buffer
      - .offset:         56
        .size:           4
        .value_kind:     by_value
      - .actual_access:  read_only
        .address_space:  global
        .offset:         64
        .size:           8
        .value_kind:     global_buffer
      - .actual_access:  read_only
        .address_space:  global
        .offset:         72
        .size:           8
        .value_kind:     global_buffer
      - .address_space:  global
        .offset:         80
        .size:           8
        .value_kind:     global_buffer
    .group_segment_fixed_size: 0
    .kernarg_segment_align: 8
    .kernarg_segment_size: 88
    .language:       OpenCL C
    .language_version:
      - 2
      - 0
    .max_flat_workgroup_size: 192
    .name:           fft_rtc_back_len96_factors_4_3_8_wgs_192_tpt_8_dim3_sp_ip_CI_sbcc_twdbase8_3step_dirReg
    .private_segment_fixed_size: 0
    .sgpr_count:     30
    .sgpr_spill_count: 0
    .symbol:         fft_rtc_back_len96_factors_4_3_8_wgs_192_tpt_8_dim3_sp_ip_CI_sbcc_twdbase8_3step_dirReg.kd
    .uniform_work_group_size: 1
    .uses_dynamic_stack: false
    .vgpr_count:     116
    .vgpr_spill_count: 0
    .wavefront_size: 64
amdhsa.target:   amdgcn-amd-amdhsa--gfx906
amdhsa.version:
  - 1
  - 2
...

	.end_amdgpu_metadata
